;; amdgpu-corpus repo=ROCm/rocFFT kind=compiled arch=gfx1201 opt=O3
	.text
	.amdgcn_target "amdgcn-amd-amdhsa--gfx1201"
	.amdhsa_code_object_version 6
	.protected	fft_rtc_back_len286_factors_13_11_2_wgs_52_tpt_26_half_ip_CI_unitstride_sbrr_R2C_dirReg ; -- Begin function fft_rtc_back_len286_factors_13_11_2_wgs_52_tpt_26_half_ip_CI_unitstride_sbrr_R2C_dirReg
	.globl	fft_rtc_back_len286_factors_13_11_2_wgs_52_tpt_26_half_ip_CI_unitstride_sbrr_R2C_dirReg
	.p2align	8
	.type	fft_rtc_back_len286_factors_13_11_2_wgs_52_tpt_26_half_ip_CI_unitstride_sbrr_R2C_dirReg,@function
fft_rtc_back_len286_factors_13_11_2_wgs_52_tpt_26_half_ip_CI_unitstride_sbrr_R2C_dirReg: ; @fft_rtc_back_len286_factors_13_11_2_wgs_52_tpt_26_half_ip_CI_unitstride_sbrr_R2C_dirReg
; %bb.0:
	s_clause 0x2
	s_load_b128 s[4:7], s[0:1], 0x0
	s_load_b64 s[8:9], s[0:1], 0x50
	s_load_b64 s[10:11], s[0:1], 0x18
	v_mul_u32_u24_e32 v1, 0x9d9, v0
	v_mov_b32_e32 v3, 0
	s_delay_alu instid0(VALU_DEP_2) | instskip(SKIP_2) | instid1(VALU_DEP_4)
	v_lshrrev_b32_e32 v7, 16, v1
	v_mov_b32_e32 v1, 0
	v_mov_b32_e32 v2, 0
	;; [unrolled: 1-line block ×3, first 2 shown]
	s_delay_alu instid0(VALU_DEP_4) | instskip(SKIP_2) | instid1(VALU_DEP_1)
	v_lshl_add_u32 v5, ttmp9, 1, v7
	s_wait_kmcnt 0x0
	v_cmp_lt_u64_e64 s2, s[6:7], 2
	s_and_b32 vcc_lo, exec_lo, s2
	s_cbranch_vccnz .LBB0_8
; %bb.1:
	s_load_b64 s[2:3], s[0:1], 0x10
	v_mov_b32_e32 v1, 0
	v_mov_b32_e32 v2, 0
	s_add_nc_u64 s[12:13], s[10:11], 8
	s_mov_b64 s[14:15], 1
	s_wait_kmcnt 0x0
	s_add_nc_u64 s[16:17], s[2:3], 8
	s_mov_b32 s3, 0
.LBB0_2:                                ; =>This Inner Loop Header: Depth=1
	s_load_b64 s[18:19], s[16:17], 0x0
                                        ; implicit-def: $vgpr9_vgpr10
	s_mov_b32 s2, exec_lo
	s_wait_kmcnt 0x0
	v_or_b32_e32 v4, s19, v6
	s_delay_alu instid0(VALU_DEP_1)
	v_cmpx_ne_u64_e32 0, v[3:4]
	s_wait_alu 0xfffe
	s_xor_b32 s20, exec_lo, s2
	s_cbranch_execz .LBB0_4
; %bb.3:                                ;   in Loop: Header=BB0_2 Depth=1
	s_cvt_f32_u32 s2, s18
	s_cvt_f32_u32 s21, s19
	s_sub_nc_u64 s[24:25], 0, s[18:19]
	s_wait_alu 0xfffe
	s_delay_alu instid0(SALU_CYCLE_1) | instskip(SKIP_1) | instid1(SALU_CYCLE_2)
	s_fmamk_f32 s2, s21, 0x4f800000, s2
	s_wait_alu 0xfffe
	v_s_rcp_f32 s2, s2
	s_delay_alu instid0(TRANS32_DEP_1) | instskip(SKIP_1) | instid1(SALU_CYCLE_2)
	s_mul_f32 s2, s2, 0x5f7ffffc
	s_wait_alu 0xfffe
	s_mul_f32 s21, s2, 0x2f800000
	s_wait_alu 0xfffe
	s_delay_alu instid0(SALU_CYCLE_2) | instskip(SKIP_1) | instid1(SALU_CYCLE_2)
	s_trunc_f32 s21, s21
	s_wait_alu 0xfffe
	s_fmamk_f32 s2, s21, 0xcf800000, s2
	s_cvt_u32_f32 s23, s21
	s_wait_alu 0xfffe
	s_delay_alu instid0(SALU_CYCLE_1) | instskip(SKIP_1) | instid1(SALU_CYCLE_2)
	s_cvt_u32_f32 s22, s2
	s_wait_alu 0xfffe
	s_mul_u64 s[26:27], s[24:25], s[22:23]
	s_wait_alu 0xfffe
	s_mul_hi_u32 s29, s22, s27
	s_mul_i32 s28, s22, s27
	s_mul_hi_u32 s2, s22, s26
	s_mul_i32 s30, s23, s26
	s_wait_alu 0xfffe
	s_add_nc_u64 s[28:29], s[2:3], s[28:29]
	s_mul_hi_u32 s21, s23, s26
	s_mul_hi_u32 s31, s23, s27
	s_add_co_u32 s2, s28, s30
	s_wait_alu 0xfffe
	s_add_co_ci_u32 s2, s29, s21
	s_mul_i32 s26, s23, s27
	s_add_co_ci_u32 s27, s31, 0
	s_wait_alu 0xfffe
	s_add_nc_u64 s[26:27], s[2:3], s[26:27]
	s_wait_alu 0xfffe
	v_add_co_u32 v4, s2, s22, s26
	s_delay_alu instid0(VALU_DEP_1) | instskip(SKIP_1) | instid1(VALU_DEP_1)
	s_cmp_lg_u32 s2, 0
	s_add_co_ci_u32 s23, s23, s27
	v_readfirstlane_b32 s22, v4
	s_wait_alu 0xfffe
	s_delay_alu instid0(VALU_DEP_1)
	s_mul_u64 s[24:25], s[24:25], s[22:23]
	s_wait_alu 0xfffe
	s_mul_hi_u32 s27, s22, s25
	s_mul_i32 s26, s22, s25
	s_mul_hi_u32 s2, s22, s24
	s_mul_i32 s28, s23, s24
	s_wait_alu 0xfffe
	s_add_nc_u64 s[26:27], s[2:3], s[26:27]
	s_mul_hi_u32 s21, s23, s24
	s_mul_hi_u32 s22, s23, s25
	s_wait_alu 0xfffe
	s_add_co_u32 s2, s26, s28
	s_add_co_ci_u32 s2, s27, s21
	s_mul_i32 s24, s23, s25
	s_add_co_ci_u32 s25, s22, 0
	s_wait_alu 0xfffe
	s_add_nc_u64 s[24:25], s[2:3], s[24:25]
	s_wait_alu 0xfffe
	v_add_co_u32 v4, s2, v4, s24
	s_delay_alu instid0(VALU_DEP_1) | instskip(SKIP_1) | instid1(VALU_DEP_1)
	s_cmp_lg_u32 s2, 0
	s_add_co_ci_u32 s2, s23, s25
	v_mul_hi_u32 v14, v5, v4
	s_wait_alu 0xfffe
	v_mad_co_u64_u32 v[8:9], null, v5, s2, 0
	v_mad_co_u64_u32 v[10:11], null, v6, v4, 0
	;; [unrolled: 1-line block ×3, first 2 shown]
	s_delay_alu instid0(VALU_DEP_3) | instskip(SKIP_1) | instid1(VALU_DEP_4)
	v_add_co_u32 v4, vcc_lo, v14, v8
	s_wait_alu 0xfffd
	v_add_co_ci_u32_e32 v8, vcc_lo, 0, v9, vcc_lo
	s_delay_alu instid0(VALU_DEP_2) | instskip(SKIP_1) | instid1(VALU_DEP_2)
	v_add_co_u32 v4, vcc_lo, v4, v10
	s_wait_alu 0xfffd
	v_add_co_ci_u32_e32 v4, vcc_lo, v8, v11, vcc_lo
	s_wait_alu 0xfffd
	v_add_co_ci_u32_e32 v8, vcc_lo, 0, v13, vcc_lo
	s_delay_alu instid0(VALU_DEP_2) | instskip(SKIP_1) | instid1(VALU_DEP_2)
	v_add_co_u32 v4, vcc_lo, v4, v12
	s_wait_alu 0xfffd
	v_add_co_ci_u32_e32 v10, vcc_lo, 0, v8, vcc_lo
	s_delay_alu instid0(VALU_DEP_2) | instskip(SKIP_1) | instid1(VALU_DEP_3)
	v_mul_lo_u32 v11, s19, v4
	v_mad_co_u64_u32 v[8:9], null, s18, v4, 0
	v_mul_lo_u32 v12, s18, v10
	s_delay_alu instid0(VALU_DEP_2) | instskip(NEXT) | instid1(VALU_DEP_2)
	v_sub_co_u32 v8, vcc_lo, v5, v8
	v_add3_u32 v9, v9, v12, v11
	s_delay_alu instid0(VALU_DEP_1) | instskip(SKIP_1) | instid1(VALU_DEP_1)
	v_sub_nc_u32_e32 v11, v6, v9
	s_wait_alu 0xfffd
	v_subrev_co_ci_u32_e64 v11, s2, s19, v11, vcc_lo
	v_add_co_u32 v12, s2, v4, 2
	s_wait_alu 0xf1ff
	v_add_co_ci_u32_e64 v13, s2, 0, v10, s2
	v_sub_co_u32 v14, s2, v8, s18
	v_sub_co_ci_u32_e32 v9, vcc_lo, v6, v9, vcc_lo
	s_wait_alu 0xf1ff
	v_subrev_co_ci_u32_e64 v11, s2, 0, v11, s2
	s_delay_alu instid0(VALU_DEP_3) | instskip(NEXT) | instid1(VALU_DEP_3)
	v_cmp_le_u32_e32 vcc_lo, s18, v14
	v_cmp_eq_u32_e64 s2, s19, v9
	s_wait_alu 0xfffd
	v_cndmask_b32_e64 v14, 0, -1, vcc_lo
	v_cmp_le_u32_e32 vcc_lo, s19, v11
	s_wait_alu 0xfffd
	v_cndmask_b32_e64 v15, 0, -1, vcc_lo
	v_cmp_le_u32_e32 vcc_lo, s18, v8
	;; [unrolled: 3-line block ×3, first 2 shown]
	s_wait_alu 0xfffd
	v_cndmask_b32_e64 v16, 0, -1, vcc_lo
	v_cmp_eq_u32_e32 vcc_lo, s19, v11
	s_wait_alu 0xf1ff
	s_delay_alu instid0(VALU_DEP_2)
	v_cndmask_b32_e64 v8, v16, v8, s2
	s_wait_alu 0xfffd
	v_cndmask_b32_e32 v11, v15, v14, vcc_lo
	v_add_co_u32 v14, vcc_lo, v4, 1
	s_wait_alu 0xfffd
	v_add_co_ci_u32_e32 v15, vcc_lo, 0, v10, vcc_lo
	s_delay_alu instid0(VALU_DEP_3) | instskip(SKIP_1) | instid1(VALU_DEP_2)
	v_cmp_ne_u32_e32 vcc_lo, 0, v11
	s_wait_alu 0xfffd
	v_cndmask_b32_e32 v9, v15, v13, vcc_lo
	v_cndmask_b32_e32 v11, v14, v12, vcc_lo
	v_cmp_ne_u32_e32 vcc_lo, 0, v8
	s_wait_alu 0xfffd
	s_delay_alu instid0(VALU_DEP_2)
	v_dual_cndmask_b32 v10, v10, v9 :: v_dual_cndmask_b32 v9, v4, v11
.LBB0_4:                                ;   in Loop: Header=BB0_2 Depth=1
	s_wait_alu 0xfffe
	s_and_not1_saveexec_b32 s2, s20
	s_cbranch_execz .LBB0_6
; %bb.5:                                ;   in Loop: Header=BB0_2 Depth=1
	v_cvt_f32_u32_e32 v4, s18
	s_sub_co_i32 s20, 0, s18
	s_delay_alu instid0(VALU_DEP_1) | instskip(NEXT) | instid1(TRANS32_DEP_1)
	v_rcp_iflag_f32_e32 v4, v4
	v_mul_f32_e32 v4, 0x4f7ffffe, v4
	s_delay_alu instid0(VALU_DEP_1) | instskip(SKIP_1) | instid1(VALU_DEP_1)
	v_cvt_u32_f32_e32 v4, v4
	s_wait_alu 0xfffe
	v_mul_lo_u32 v8, s20, v4
	s_delay_alu instid0(VALU_DEP_1) | instskip(NEXT) | instid1(VALU_DEP_1)
	v_mul_hi_u32 v8, v4, v8
	v_add_nc_u32_e32 v4, v4, v8
	s_delay_alu instid0(VALU_DEP_1) | instskip(NEXT) | instid1(VALU_DEP_1)
	v_mul_hi_u32 v4, v5, v4
	v_mul_lo_u32 v8, v4, s18
	s_delay_alu instid0(VALU_DEP_1) | instskip(NEXT) | instid1(VALU_DEP_1)
	v_sub_nc_u32_e32 v8, v5, v8
	v_subrev_nc_u32_e32 v10, s18, v8
	v_cmp_le_u32_e32 vcc_lo, s18, v8
	s_wait_alu 0xfffd
	s_delay_alu instid0(VALU_DEP_2) | instskip(NEXT) | instid1(VALU_DEP_1)
	v_dual_cndmask_b32 v8, v8, v10 :: v_dual_add_nc_u32 v9, 1, v4
	v_cndmask_b32_e32 v4, v4, v9, vcc_lo
	v_mov_b32_e32 v10, v3
	s_delay_alu instid0(VALU_DEP_3) | instskip(NEXT) | instid1(VALU_DEP_3)
	v_cmp_le_u32_e32 vcc_lo, s18, v8
	v_add_nc_u32_e32 v9, 1, v4
	s_wait_alu 0xfffd
	s_delay_alu instid0(VALU_DEP_1)
	v_cndmask_b32_e32 v9, v4, v9, vcc_lo
.LBB0_6:                                ;   in Loop: Header=BB0_2 Depth=1
	s_wait_alu 0xfffe
	s_or_b32 exec_lo, exec_lo, s2
	s_load_b64 s[20:21], s[12:13], 0x0
	v_mul_lo_u32 v4, v10, s18
	v_mul_lo_u32 v8, v9, s19
	v_mad_co_u64_u32 v[11:12], null, v9, s18, 0
	s_add_nc_u64 s[14:15], s[14:15], 1
	s_add_nc_u64 s[12:13], s[12:13], 8
	s_wait_alu 0xfffe
	v_cmp_ge_u64_e64 s2, s[14:15], s[6:7]
	s_add_nc_u64 s[16:17], s[16:17], 8
	s_delay_alu instid0(VALU_DEP_2) | instskip(NEXT) | instid1(VALU_DEP_3)
	v_add3_u32 v4, v12, v8, v4
	v_sub_co_u32 v5, vcc_lo, v5, v11
	s_wait_alu 0xfffd
	s_delay_alu instid0(VALU_DEP_2) | instskip(SKIP_3) | instid1(VALU_DEP_2)
	v_sub_co_ci_u32_e32 v4, vcc_lo, v6, v4, vcc_lo
	s_and_b32 vcc_lo, exec_lo, s2
	s_wait_kmcnt 0x0
	v_mul_lo_u32 v6, s21, v5
	v_mul_lo_u32 v4, s20, v4
	v_mad_co_u64_u32 v[1:2], null, s20, v5, v[1:2]
	s_delay_alu instid0(VALU_DEP_1)
	v_add3_u32 v2, v6, v2, v4
	s_wait_alu 0xfffe
	s_cbranch_vccnz .LBB0_9
; %bb.7:                                ;   in Loop: Header=BB0_2 Depth=1
	v_dual_mov_b32 v5, v9 :: v_dual_mov_b32 v6, v10
	s_branch .LBB0_2
.LBB0_8:
	v_dual_mov_b32 v10, v6 :: v_dual_mov_b32 v9, v5
.LBB0_9:
	s_lshl_b64 s[2:3], s[6:7], 3
	v_mul_hi_u32 v3, 0x9d89d8a, v0
	s_wait_alu 0xfffe
	s_add_nc_u64 s[2:3], s[10:11], s[2:3]
	v_and_b32_e32 v6, 1, v7
	s_load_b64 s[2:3], s[2:3], 0x0
	s_load_b64 s[0:1], s[0:1], 0x20
	s_delay_alu instid0(VALU_DEP_1) | instskip(NEXT) | instid1(VALU_DEP_3)
	v_cmp_eq_u32_e32 vcc_lo, 1, v6
	v_mul_u32_u24_e32 v3, 26, v3
	s_wait_alu 0xfffd
	v_cndmask_b32_e64 v29, 0, 0x11f, vcc_lo
	s_delay_alu instid0(VALU_DEP_2) | instskip(NEXT) | instid1(VALU_DEP_2)
	v_sub_nc_u32_e32 v8, v0, v3
	v_lshlrev_b32_e32 v12, 2, v29
	s_delay_alu instid0(VALU_DEP_2)
	v_lshlrev_b32_e32 v26, 2, v8
	s_wait_kmcnt 0x0
	v_mul_lo_u32 v4, s2, v10
	v_mul_lo_u32 v5, s3, v9
	v_mad_co_u64_u32 v[1:2], null, s2, v9, v[1:2]
	v_cmp_gt_u64_e32 vcc_lo, s[0:1], v[9:10]
	s_delay_alu instid0(VALU_DEP_2) | instskip(NEXT) | instid1(VALU_DEP_1)
	v_add3_u32 v2, v5, v2, v4
	v_lshlrev_b64_e32 v[10:11], 2, v[1:2]
	s_and_saveexec_b32 s1, vcc_lo
	s_cbranch_execz .LBB0_11
; %bb.10:
	v_mov_b32_e32 v9, 0
	s_delay_alu instid0(VALU_DEP_2) | instskip(SKIP_2) | instid1(VALU_DEP_3)
	v_add_co_u32 v2, s0, s8, v10
	s_wait_alu 0xf1ff
	v_add_co_ci_u32_e64 v3, s0, s9, v11, s0
	v_lshlrev_b64_e32 v[0:1], 2, v[8:9]
	s_delay_alu instid0(VALU_DEP_1) | instskip(SKIP_1) | instid1(VALU_DEP_2)
	v_add_co_u32 v0, s0, v2, v0
	s_wait_alu 0xf1ff
	v_add_co_ci_u32_e64 v1, s0, v3, v1, s0
	s_clause 0xa
	global_load_b32 v2, v[0:1], off
	global_load_b32 v3, v[0:1], off offset:104
	global_load_b32 v4, v[0:1], off offset:208
	;; [unrolled: 1-line block ×10, first 2 shown]
	v_add3_u32 v1, 0, v12, v26
	s_wait_loadcnt 0x9
	ds_store_2addr_b32 v1, v2, v3 offset1:26
	s_wait_loadcnt 0x7
	ds_store_2addr_b32 v1, v4, v5 offset0:52 offset1:78
	s_wait_loadcnt 0x5
	ds_store_2addr_b32 v1, v6, v7 offset0:104 offset1:130
	;; [unrolled: 2-line block ×4, first 2 shown]
	s_wait_loadcnt 0x0
	ds_store_b32 v1, v0 offset:1040
.LBB0_11:
	s_wait_alu 0xfffe
	s_or_b32 exec_lo, exec_lo, s1
	v_add_nc_u32_e32 v30, 0, v26
	v_add_nc_u32_e32 v27, 0, v12
	global_wb scope:SCOPE_SE
	s_wait_dscnt 0x0
	s_barrier_signal -1
	s_barrier_wait -1
	v_add_nc_u32_e32 v28, v30, v12
	v_add_nc_u32_e32 v25, v27, v26
	global_inv scope:SCOPE_SE
	s_mov_b32 s1, exec_lo
	ds_load_2addr_b32 v[14:15], v28 offset0:66 offset1:88
	ds_load_2addr_b32 v[2:3], v28 offset0:198 offset1:220
	v_add_nc_u32_e32 v9, 0x200, v28
	ds_load_2addr_b32 v[6:7], v28 offset0:110 offset1:132
	ds_load_2addr_b32 v[4:5], v28 offset0:154 offset1:176
	;; [unrolled: 1-line block ×4, first 2 shown]
	ds_load_b32 v18, v25
	global_wb scope:SCOPE_SE
	s_wait_dscnt 0x0
	s_barrier_signal -1
	s_barrier_wait -1
	global_inv scope:SCOPE_SE
	v_pk_add_f16 v20, v6, v5 neg_lo:[0,1] neg_hi:[0,1]
	v_pk_add_f16 v22, v14, v3 neg_lo:[0,1] neg_hi:[0,1]
	;; [unrolled: 1-line block ×3, first 2 shown]
	v_pk_add_f16 v37, v1, v16
	v_pk_add_f16 v34, v17, v0 neg_lo:[0,1] neg_hi:[0,1]
	v_pk_add_f16 v36, v0, v17
	v_pk_add_f16 v35, v3, v14
	v_pk_mul_f16 v13, 0xba95, v24 op_sel_hi:[0,1]
	v_pk_add_f16 v21, v15, v2 neg_lo:[0,1] neg_hi:[0,1]
	v_pk_mul_f16 v43, 0xbb7b, v34 op_sel_hi:[0,1]
	v_lshrrev_b32_e32 v50, 16, v18
	v_pk_mul_f16 v31, 0xb3a8, v22 op_sel_hi:[0,1]
	v_pk_fma_f16 v38, 0x388b, v37, v13 op_sel:[0,0,1] op_sel_hi:[0,1,0]
	v_pk_fma_f16 v41, 0x388b, v37, v13 op_sel:[0,0,1] op_sel_hi:[0,1,0] neg_lo:[0,0,1] neg_hi:[0,0,1]
	v_pk_fma_f16 v39, 0xb5ac, v36, v43 op_sel:[0,0,1] op_sel_hi:[0,1,0]
	v_pk_add_f16 v33, v2, v15
	v_pk_mul_f16 v42, 0x394e, v21 op_sel_hi:[0,1]
	v_lshrrev_b32_e32 v13, 16, v38
	v_pk_fma_f16 v40, 0xbbc4, v35, v31 op_sel:[0,0,1] op_sel_hi:[0,1,0]
	v_pk_fma_f16 v43, 0xb5ac, v36, v43 op_sel:[0,0,1] op_sel_hi:[0,1,0] neg_lo:[0,0,1] neg_hi:[0,0,1]
	v_add_f16_e32 v47, v18, v41
	v_lshrrev_b32_e32 v48, 16, v39
	v_add_f16_e32 v13, v50, v13
	v_pk_add_f16 v32, v5, v6
	v_pk_add_f16 v19, v7, v4 neg_lo:[0,1] neg_hi:[0,1]
	v_pk_mul_f16 v46, 0x3bf1, v20 op_sel_hi:[0,1]
	v_pk_fma_f16 v44, 0xbbc4, v35, v31 op_sel:[0,0,1] op_sel_hi:[0,1,0] neg_lo:[0,0,1] neg_hi:[0,0,1]
	v_pk_fma_f16 v45, 0xb9fd, v33, v42 op_sel:[0,0,1] op_sel_hi:[0,1,0]
	v_lshrrev_b32_e32 v31, 16, v40
	v_add_f16_e32 v47, v43, v47
	v_add_f16_e32 v13, v48, v13
	v_pk_add_f16 v23, v4, v7
	v_pk_mul_f16 v49, 0x3770, v19 op_sel_hi:[0,1]
	v_pk_fma_f16 v48, 0xb9fd, v33, v42 op_sel:[0,0,1] op_sel_hi:[0,1,0] neg_lo:[0,0,1] neg_hi:[0,0,1]
	v_pk_fma_f16 v42, 0x2fb7, v32, v46 op_sel:[0,0,1] op_sel_hi:[0,1,0]
	v_lshrrev_b32_e32 v51, 16, v45
	v_add_f16_e32 v52, v44, v47
	v_add_f16_e32 v13, v31, v13
	v_pk_fma_f16 v46, 0x2fb7, v32, v46 op_sel:[0,0,1] op_sel_hi:[0,1,0] neg_lo:[0,0,1] neg_hi:[0,0,1]
	v_pk_fma_f16 v47, 0x3b15, v23, v49 op_sel:[0,0,1] op_sel_hi:[0,1,0]
	v_lshrrev_b32_e32 v31, 16, v42
	v_add_f16_e32 v52, v48, v52
	v_add_f16_e32 v13, v51, v13
	v_pk_fma_f16 v49, 0x3b15, v23, v49 op_sel:[0,0,1] op_sel_hi:[0,1,0] neg_lo:[0,0,1] neg_hi:[0,0,1]
	v_lshrrev_b32_e32 v51, 16, v47
	s_delay_alu instid0(VALU_DEP_4) | instskip(NEXT) | instid1(VALU_DEP_4)
	v_add_f16_e32 v52, v46, v52
	v_add_f16_e32 v31, v31, v13
	s_delay_alu instid0(VALU_DEP_2) | instskip(NEXT) | instid1(VALU_DEP_2)
	v_add_f16_e32 v13, v49, v52
	v_add_f16_e32 v31, v51, v31
	v_cmpx_gt_u32_e32 22, v8
	s_cbranch_execz .LBB0_13
; %bb.12:
	v_mul_f16_e32 v51, 0xbbf1, v24
	v_lshrrev_b32_e32 v52, 16, v37
	v_mul_f16_e32 v53, 0xb3a8, v34
	v_lshrrev_b32_e32 v54, 16, v36
	;; [unrolled: 2-line block ×3, first 2 shown]
	v_fmamk_f16 v56, v52, 0x2fb7, v51
	v_lshrrev_b32_e32 v62, 16, v24
	v_fmamk_f16 v60, v54, 0xbbc4, v53
	v_mul_f16_e32 v58, 0x3770, v21
	v_lshrrev_b32_e32 v59, 16, v33
	v_add_f16_e32 v56, v50, v56
	v_fmamk_f16 v64, v57, 0xb5ac, v55
	v_mul_f16_e32 v65, 0xbbf1, v62
	v_lshrrev_b32_e32 v69, 16, v22
	v_fmamk_f16 v67, v59, 0x3b15, v58
	v_add_f16_e32 v56, v60, v56
	v_lshrrev_b32_e32 v60, 16, v34
	v_fma_f16 v68, v37, 0x2fb7, -v65
	v_mul_f16_e32 v71, 0x3b7b, v69
	v_lshrrev_b32_e32 v72, 16, v21
	v_add_f16_e32 v56, v64, v56
	v_mul_f16_e32 v64, 0xb3a8, v60
	v_add_f16_e32 v68, v18, v68
	v_lshrrev_b32_e32 v74, 16, v20
	v_mul_f16_e32 v73, 0x3770, v72
	v_add_f16_e32 v56, v67, v56
	v_fma_f16 v67, v36, 0xbbc4, -v64
	v_lshrrev_b32_e32 v79, 16, v19
	v_mul_f16_e32 v77, 0xba95, v74
	v_mul_f16_e32 v82, 0xbb7b, v62
	;; [unrolled: 1-line block ×3, first 2 shown]
	v_add_f16_e32 v67, v67, v68
	v_fma_f16 v68, v35, 0xb5ac, -v71
	v_lshrrev_b32_e32 v63, 16, v32
	v_fma_f16 v85, v37, 0xb5ac, -v82
	v_mul_f16_e32 v86, 0x394e, v60
	v_mul_f16_e32 v89, 0x3770, v69
	v_add_f16_e32 v67, v68, v67
	v_fma_f16 v68, v33, 0x3b15, -v73
	v_fmamk_f16 v70, v63, 0x388b, v61
	v_add_f16_e32 v85, v18, v85
	v_fma_f16 v88, v36, 0xb9fd, -v86
	v_pk_add_f16 v16, v18, v16
	v_add_f16_e32 v67, v68, v67
	v_fma_f16 v68, v32, 0x388b, -v77
	v_mul_f16_e32 v66, 0xb94e, v19
	v_add_f16_e32 v56, v70, v56
	v_lshrrev_b32_e32 v70, 16, v23
	v_mul_f16_e32 v90, 0xb94e, v24
	v_add_f16_e32 v67, v68, v67
	v_mul_f16_e32 v68, 0xb94e, v79
	v_pk_add_f16 v16, v16, v17
	v_fmamk_f16 v75, v70, 0xb9fd, v66
	v_mul_f16_e32 v76, 0xbb7b, v24
	v_mul_f16_e32 v91, 0x33a8, v74
	v_fma_f16 v84, v23, 0xb9fd, -v68
	v_fmamk_f16 v93, v52, 0xb9fd, v90
	v_mul_f16_e32 v94, 0x3bf1, v34
	v_mul_f16_e32 v62, 0xb94e, v62
	v_pk_add_f16 v14, v16, v14
	v_add_f16_e32 v67, v84, v67
	v_add_f16_e32 v84, v88, v85
	v_fma_f16 v85, v35, 0x3b15, -v89
	v_mul_f16_e32 v88, 0xbbf1, v72
	v_add_f16_e32 v56, v75, v56
	v_fmamk_f16 v75, v52, 0xb5ac, v76
	v_mul_f16_e32 v78, 0x394e, v34
	v_add_f16_e32 v84, v85, v84
	v_fma_f16 v85, v33, 0x2fb7, -v88
	v_mul_f16_e32 v95, 0x3a95, v79
	v_add_f16_e32 v93, v50, v93
	v_fmamk_f16 v96, v54, 0x2fb7, v94
	v_fma_f16 v98, v37, 0xb9fd, -v62
	v_add_f16_e32 v84, v85, v84
	v_fma_f16 v85, v32, 0xbbc4, -v91
	v_mul_f16_e32 v60, 0x3bf1, v60
	v_fmac_f16_e32 v62, 0xb9fd, v37
	v_pk_add_f16 v14, v14, v15
	v_add_f16_e32 v75, v50, v75
	v_fmamk_f16 v80, v54, 0xb9fd, v78
	v_mul_f16_e32 v81, 0x3770, v22
	v_add_f16_e32 v84, v85, v84
	v_add_f16_e32 v85, v96, v93
	v_fma_f16 v96, v23, 0x388b, -v95
	v_add_f16_e32 v98, v18, v98
	v_fma_f16 v100, v36, 0x2fb7, -v60
	v_mul_f16_e32 v69, 0xba95, v69
	v_add_f16_e32 v62, v18, v62
	v_fmac_f16_e32 v60, 0x2fb7, v36
	v_fma_f16 v76, v52, 0xb5ac, -v76
	v_pk_add_f16 v6, v14, v6
	v_pk_mul_f16 v14, 0xb770, v24 op_sel_hi:[0,1]
	v_add_f16_e32 v75, v80, v75
	v_fmamk_f16 v80, v57, 0x3b15, v81
	v_mul_f16_e32 v83, 0xbbf1, v21
	v_add_f16_e32 v84, v96, v84
	v_add_f16_e32 v96, v100, v98
	v_fma_f16 v98, v35, 0x388b, -v69
	v_mul_f16_e32 v72, 0x33a8, v72
	v_fma_f16 v90, v52, 0xb9fd, -v90
	v_add_f16_e32 v60, v60, v62
	v_fmac_f16_e32 v69, 0x388b, v35
	v_add_f16_e32 v76, v50, v76
	v_fma_f16 v78, v54, 0xb9fd, -v78
	v_fma_f16 v51, v52, 0x2fb7, -v51
	v_bfi_b32 v39, 0xffff, v39, v43
	v_pk_add_f16 v6, v6, v7
	v_pk_fma_f16 v7, 0x3b15, v37, v14 op_sel:[0,0,1] op_sel_hi:[0,1,0]
	v_pk_fma_f16 v14, 0x3b15, v37, v14 op_sel:[0,0,1] op_sel_hi:[0,1,0] neg_lo:[0,0,1] neg_hi:[0,0,1]
	v_pk_mul_f16 v43, 0xba95, v34 op_sel_hi:[0,1]
	v_add_f16_e32 v75, v80, v75
	v_fmamk_f16 v80, v59, 0x2fb7, v83
	v_mul_f16_e32 v87, 0x33a8, v20
	v_add_f16_e32 v96, v98, v96
	v_fma_f16 v98, v33, 0xbbc4, -v72
	v_mul_f16_e32 v74, 0x3770, v74
	v_add_f16_e32 v90, v50, v90
	v_add_f16_e32 v60, v69, v60
	v_fmac_f16_e32 v72, 0xbbc4, v33
	v_add_f16_e32 v76, v78, v76
	v_fma_f16 v78, v57, 0x3b15, -v81
	v_add_f16_e32 v50, v50, v51
	v_fma_f16 v51, v54, 0xbbc4, -v53
	v_bfi_b32 v38, 0xffff, v38, v41
	v_bfi_b32 v41, 0xffff, v45, v48
	;; [unrolled: 1-line block ×3, first 2 shown]
	v_pk_add_f16 v4, v6, v4
	v_bfi_b32 v6, 0xffff, v7, v14
	v_pk_fma_f16 v45, 0x388b, v36, v43 op_sel:[0,0,1] op_sel_hi:[0,1,0]
	v_pk_fma_f16 v43, 0x388b, v36, v43 op_sel:[0,0,1] op_sel_hi:[0,1,0] neg_lo:[0,0,1] neg_hi:[0,0,1]
	v_pk_mul_f16 v46, 0xbbf1, v22 op_sel_hi:[0,1]
	v_add_f16_e32 v75, v80, v75
	v_fmamk_f16 v80, v63, 0xbbc4, v87
	v_add_f16_e32 v96, v98, v96
	v_fma_f16 v98, v32, 0x3b15, -v74
	v_add_f16_e32 v60, v72, v60
	v_fmac_f16_e32 v74, 0x3b15, v32
	v_add_f16_e32 v72, v78, v76
	v_fma_f16 v76, v59, 0x2fb7, -v83
	v_fmac_f16_e32 v65, 0x2fb7, v37
	v_add_f16_e32 v50, v51, v50
	v_fma_f16 v51, v57, 0xb5ac, -v55
	v_bfi_b32 v40, 0xffff, v40, v44
	v_bfi_b32 v44, 0xffff, v47, v49
	v_pk_mul_f16 v47, 0xbb7b, v21 op_sel_hi:[0,1]
	v_pk_add_f16 v4, v4, v5
	v_pk_add_f16 v5, v18, v6
	v_bfi_b32 v6, 0xffff, v45, v43
	v_pk_fma_f16 v48, 0x2fb7, v35, v46 op_sel:[0,0,1] op_sel_hi:[0,1,0]
	v_pk_fma_f16 v46, 0x2fb7, v35, v46 op_sel:[0,0,1] op_sel_hi:[0,1,0] neg_lo:[0,0,1] neg_hi:[0,0,1]
	v_add_f16_e32 v75, v80, v75
	v_mul_f16_e32 v80, 0x3a95, v19
	v_add_f16_e32 v60, v74, v60
	v_add_f16_e32 v72, v76, v72
	v_fma_f16 v74, v63, 0xbbc4, -v87
	v_add_f16_e32 v53, v18, v65
	v_fmac_f16_e32 v64, 0xbbc4, v36
	v_add_f16_e32 v50, v51, v50
	v_fma_f16 v51, v59, 0x3b15, -v58
	v_pk_add_f16 v2, v4, v2
	v_pk_add_f16 v4, v6, v5
	v_bfi_b32 v5, 0xffff, v48, v46
	v_pk_fma_f16 v6, 0xb5ac, v33, v47 op_sel:[0,0,1] op_sel_hi:[0,1,0]
	v_pk_fma_f16 v47, 0xb5ac, v33, v47 op_sel:[0,0,1] op_sel_hi:[0,1,0] neg_lo:[0,0,1] neg_hi:[0,0,1]
	v_fmac_f16_e32 v82, 0xb5ac, v37
	v_add_f16_e32 v72, v74, v72
	v_fma_f16 v52, v70, 0x388b, -v80
	v_add_f16_e32 v53, v64, v53
	v_fmac_f16_e32 v71, 0xb5ac, v35
	v_add_f16_e32 v50, v51, v50
	v_fma_f16 v51, v63, 0x388b, -v61
	v_pk_mul_f16 v49, 0xb94e, v20 op_sel_hi:[0,1]
	v_pk_add_f16 v2, v2, v3
	v_pk_add_f16 v3, v5, v4
	v_bfi_b32 v4, 0xffff, v6, v47
	v_pk_add_f16 v38, v18, v38
	v_pk_mul_f16 v37, 0xbbc4, v37 op_sel_hi:[0,1]
	v_fmac_f16_e32 v86, 0xb9fd, v36
	v_add_f16_e32 v53, v71, v53
	v_fmac_f16_e32 v73, 0x3b15, v33
	v_add_f16_e32 v50, v51, v50
	v_add_f16_e32 v51, v52, v72
	v_pk_mul_f16 v52, 0xb3a8, v19 op_sel_hi:[0,1]
	v_pk_fma_f16 v5, 0xb9fd, v32, v49 op_sel:[0,0,1] op_sel_hi:[0,1,0]
	v_pk_fma_f16 v49, 0xb9fd, v32, v49 op_sel:[0,0,1] op_sel_hi:[0,1,0] neg_lo:[0,0,1] neg_hi:[0,0,1]
	v_pk_add_f16 v0, v2, v0
	v_pk_add_f16 v2, v4, v3
	;; [unrolled: 1-line block ×3, first 2 shown]
	v_pk_fma_f16 v38, 0xb3a8, v24, v37 op_sel:[0,0,1] op_sel_hi:[0,1,0]
	v_alignbit_b32 v39, s0, v18, 16
	v_pk_mul_f16 v36, 0x3b15, v36 op_sel_hi:[0,1]
	v_fmamk_f16 v92, v70, 0x388b, v80
	v_mul_f16_e32 v97, 0xba95, v22
	v_fmac_f16_e32 v89, 0x3b15, v35
	v_add_f16_e32 v17, v73, v53
	v_bfi_b32 v3, 0xffff, v5, v49
	v_pk_fma_f16 v53, 0xbbc4, v23, v52 op_sel:[0,0,1] op_sel_hi:[0,1,0]
	v_pk_fma_f16 v52, 0xbbc4, v23, v52 op_sel:[0,0,1] op_sel_hi:[0,1,0] neg_lo:[0,0,1] neg_hi:[0,0,1]
	v_pk_add_f16 v4, v40, v4
	v_pk_add_f16 v39, v39, v38
	v_pk_fma_f16 v40, 0x3770, v34, v36 op_sel:[0,0,1] op_sel_hi:[0,1,0]
	v_pk_mul_f16 v35, 0xb9fd, v35 op_sel_hi:[0,1]
	v_pk_fma_f16 v24, 0xb3a8, v24, v37 op_sel:[0,0,1] op_sel_hi:[0,1,0] neg_lo:[0,1,0] neg_hi:[0,1,0]
	v_alignbit_b32 v37, s0, v38, 16
	v_add_f16_e32 v75, v92, v75
	v_fmamk_f16 v92, v57, 0x388b, v97
	v_mul_f16_e32 v93, 0x33a8, v21
	v_fma_f16 v94, v54, 0x2fb7, -v94
	v_add_f16_e32 v76, v18, v82
	v_fmac_f16_e32 v88, 0x2fb7, v33
	v_pk_add_f16 v2, v3, v2
	v_bfi_b32 v3, 0xffff, v53, v52
	v_pk_add_f16 v4, v41, v4
	v_pk_add_f16 v39, v40, v39
	v_pk_fma_f16 v41, 0xb94e, v22, v35 op_sel:[0,0,1] op_sel_hi:[0,1,0]
	v_pk_mul_f16 v33, 0x388b, v33 op_sel_hi:[0,1]
	v_pk_add_f16 v24, v18, v24 op_sel:[1,0] op_sel_hi:[0,1]
	v_pk_fma_f16 v34, 0x3770, v34, v36 op_sel:[0,0,1] op_sel_hi:[0,1,0] neg_lo:[0,1,0] neg_hi:[0,1,0]
	v_pk_add_f16 v36, v18, v37
	v_alignbit_b32 v37, s0, v40, 16
	v_bfi_b32 v7, 0xffff, v14, v7
	v_add_f16_e32 v85, v92, v85
	v_fmamk_f16 v92, v59, 0xbbc4, v93
	v_mul_f16_e32 v99, 0x3770, v20
	v_add_f16_e32 v90, v94, v90
	v_fma_f16 v94, v57, 0x388b, -v97
	v_add_f16_e32 v74, v86, v76
	v_mul_f16_e32 v79, 0xbb7b, v79
	v_fmac_f16_e32 v91, 0xbbc4, v32
	v_fmac_f16_e32 v77, 0x388b, v32
	v_pk_add_f16 v0, v0, v1
	v_pk_add_f16 v1, v3, v2
	;; [unrolled: 1-line block ×4, first 2 shown]
	v_pk_fma_f16 v4, 0x3a95, v21, v33 op_sel:[0,0,1] op_sel_hi:[0,1,0]
	v_pk_mul_f16 v32, 0xb5ac, v32 op_sel_hi:[0,1]
	v_pk_add_f16 v24, v34, v24
	v_pk_fma_f16 v22, 0xb94e, v22, v35 op_sel:[0,0,1] op_sel_hi:[0,1,0] neg_lo:[0,1,0] neg_hi:[0,1,0]
	v_pk_add_f16 v34, v37, v36
	v_alignbit_b32 v35, s0, v41, 16
	v_pk_add_f16 v7, v18, v7
	v_bfi_b32 v18, 0xffff, v43, v45
	v_add_f16_e32 v85, v92, v85
	v_fmamk_f16 v92, v63, 0x3b15, v99
	v_add_f16_e32 v90, v94, v90
	v_fma_f16 v93, v59, 0xbbc4, -v93
	v_add_f16_e32 v54, v89, v74
	v_fma_f16 v62, v23, 0xb5ac, -v79
	v_fmac_f16_e32 v79, 0xb5ac, v23
	v_fmac_f16_e32 v95, 0x388b, v23
	;; [unrolled: 1-line block ×3, first 2 shown]
	v_pk_add_f16 v3, v4, v3
	v_pk_fma_f16 v38, 0xbb7b, v20, v32 op_sel:[0,0,1] op_sel_hi:[0,1,0]
	v_pk_mul_f16 v23, 0x2fb7, v23 op_sel_hi:[0,1]
	v_pk_add_f16 v14, v22, v24
	v_pk_fma_f16 v21, 0x3a95, v21, v33 op_sel:[0,0,1] op_sel_hi:[0,1,0] neg_lo:[0,1,0] neg_hi:[0,1,0]
	v_pk_add_f16 v22, v35, v34
	v_alignbit_b32 v4, s0, v4, 16
	v_pk_add_f16 v7, v18, v7
	v_bfi_b32 v18, 0xffff, v46, v48
	v_add_f16_e32 v85, v92, v85
	v_mul_f16_e32 v92, 0xbb7b, v19
	v_add_f16_e32 v90, v93, v90
	v_fma_f16 v69, v63, 0x3b15, -v99
	v_add_f16_e32 v54, v88, v54
	v_pk_fma_f16 v36, 0x3bf1, v19, v23 op_sel:[0,0,1] op_sel_hi:[0,1,0]
	v_pk_add_f16 v14, v21, v14
	v_pk_fma_f16 v20, 0xbb7b, v20, v32 op_sel:[0,0,1] op_sel_hi:[0,1,0] neg_lo:[0,1,0] neg_hi:[0,1,0]
	v_pk_add_f16 v4, v4, v22
	v_alignbit_b32 v21, s0, v38, 16
	v_fma_f16 v16, v70, 0xb9fd, -v66
	v_pk_add_f16 v7, v18, v7
	v_bfi_b32 v6, 0xffff, v47, v6
	v_add_f16_e32 v17, v77, v17
	v_add_f16_e32 v69, v69, v90
	v_fma_f16 v78, v70, 0xb5ac, -v92
	v_add_f16_e32 v54, v91, v54
	v_pk_add_f16 v3, v38, v3
	v_pk_add_f16 v14, v20, v14
	v_pk_fma_f16 v19, 0x3bf1, v19, v23 op_sel:[0,0,1] op_sel_hi:[0,1,0] neg_lo:[0,1,0] neg_hi:[0,1,0]
	v_pk_add_f16 v4, v21, v4
	v_alignbit_b32 v20, s0, v36, 16
	v_fmamk_f16 v100, v70, 0xb5ac, v92
	v_add_f16_e32 v96, v98, v96
	v_add_f16_e32 v16, v16, v50
	v_mul_u32_u24_e32 v50, 48, v8
	v_pk_add_f16 v6, v6, v7
	v_bfi_b32 v5, 0xffff, v49, v5
	v_add_f16_e32 v17, v68, v17
	v_add_f16_e32 v69, v78, v69
	;; [unrolled: 1-line block ×4, first 2 shown]
	v_pk_add_f16 v3, v36, v3
	v_pk_add_f16 v14, v19, v14
	;; [unrolled: 1-line block ×3, first 2 shown]
	v_add_f16_e32 v85, v100, v85
	v_add_f16_e32 v62, v62, v96
	v_add3_u32 v50, v30, v50, v12
	v_pk_add_f16 v5, v5, v6
	v_bfi_b32 v6, 0xffff, v52, v53
	v_pk_add_f16 v2, v44, v2
	v_pack_b32_f16 v16, v17, v16
	v_pack_b32_f16 v7, v60, v69
	;; [unrolled: 1-line block ×3, first 2 shown]
	v_alignbit_b32 v3, v3, v14, 16
	v_pack_b32_f16 v4, v4, v14
	v_pack_b32_f16 v14, v84, v75
	;; [unrolled: 1-line block ×4, first 2 shown]
	v_perm_b32 v19, v31, v13, 0x5040100
	v_pk_add_f16 v5, v6, v5
	ds_store_2addr_b32 v50, v0, v1 offset1:1
	ds_store_2addr_b32 v50, v2, v16 offset0:2 offset1:3
	ds_store_2addr_b32 v50, v15, v7 offset0:4 offset1:5
	;; [unrolled: 1-line block ×5, first 2 shown]
	ds_store_b32 v50, v5 offset:48
.LBB0_13:
	s_wait_alu 0xfffe
	s_or_b32 exec_lo, exec_lo, s1
	v_add_nc_u32_e32 v14, -13, v8
	v_cmp_gt_u32_e64 s0, 13, v8
	v_mov_b32_e32 v16, 0
	global_wb scope:SCOPE_SE
	s_wait_dscnt 0x0
	s_barrier_signal -1
	s_barrier_wait -1
	s_wait_alu 0xf1ff
	v_cndmask_b32_e64 v36, v14, v8, s0
	global_inv scope:SCOPE_SE
	v_mul_i32_i24_e32 v15, 10, v36
	v_lshlrev_b32_e32 v36, 2, v36
	s_delay_alu instid0(VALU_DEP_2) | instskip(NEXT) | instid1(VALU_DEP_1)
	v_lshlrev_b64_e32 v[0:1], 2, v[15:16]
	v_add_co_u32 v17, s1, s4, v0
	s_wait_alu 0xf1ff
	s_delay_alu instid0(VALU_DEP_2)
	v_add_co_ci_u32_e64 v18, s1, s5, v1, s1
	v_cmp_lt_u32_e64 s1, 12, v8
	s_clause 0x2
	global_load_b128 v[0:3], v[17:18], off
	global_load_b128 v[4:7], v[17:18], off offset:16
	global_load_b64 v[17:18], v[17:18], off offset:32
	ds_load_2addr_b32 v[23:24], v28 offset0:130 offset1:156
	ds_load_2addr_b32 v[21:22], v28 offset0:182 offset1:208
	;; [unrolled: 1-line block ×5, first 2 shown]
	ds_load_b32 v15, v25
	ds_load_u16 v37, v28 offset:522
	s_wait_alu 0xf1ff
	v_cndmask_b32_e64 v9, 0, 0x23c, s1
	global_wb scope:SCOPE_SE
	s_wait_loadcnt_dscnt 0x0
	s_barrier_signal -1
	s_barrier_wait -1
	global_inv scope:SCOPE_SE
	v_add_nc_u32_e32 v9, 0, v9
	s_delay_alu instid0(VALU_DEP_1)
	v_add3_u32 v9, v9, v36, v12
	v_lshrrev_b32_e32 v36, 16, v24
	v_lshrrev_b32_e32 v38, 16, v21
	;; [unrolled: 1-line block ×15, first 2 shown]
	v_mul_f16_e32 v56, v46, v42
	v_mul_f16_e32 v46, v46, v32
	;; [unrolled: 1-line block ×7, first 2 shown]
	v_fmac_f16_e32 v56, v0, v32
	v_fma_f16 v0, v0, v42, -v46
	v_lshrrev_b32_e32 v49, 16, v3
	v_lshrrev_b32_e32 v50, 16, v4
	;; [unrolled: 1-line block ×5, first 2 shown]
	v_mul_f16_e32 v55, v20, v55
	v_mul_f16_e32 v58, v48, v44
	;; [unrolled: 1-line block ×3, first 2 shown]
	v_fmac_f16_e32 v57, v1, v33
	v_fma_f16 v1, v1, v43, -v47
	v_fmac_f16_e32 v64, v19, v17
	v_fmac_f16_e32 v65, v20, v18
	v_fma_f16 v17, v40, v17, -v54
	v_add_f16_e32 v19, v56, v15
	v_add_f16_e32 v20, v0, v12
	v_mul_f16_e32 v59, v49, v45
	v_mul_f16_e32 v49, v49, v35
	v_mul_f16_e32 v60, v37, v50
	v_mul_f16_e32 v50, v50, v23
	v_mul_f16_e32 v61, v36, v51
	v_mul_f16_e32 v51, v24, v51
	v_mul_f16_e32 v62, v38, v52
	v_mul_f16_e32 v52, v21, v52
	v_mul_f16_e32 v63, v39, v53
	v_mul_f16_e32 v53, v22, v53
	v_fma_f16 v18, v41, v18, -v55
	v_fmac_f16_e32 v58, v2, v34
	v_fma_f16 v2, v2, v44, -v48
	v_add_f16_e32 v32, v1, v17
	v_sub_f16_e32 v34, v1, v17
	v_add_f16_e32 v19, v19, v57
	v_add_f16_e32 v1, v20, v1
	v_fmac_f16_e32 v59, v3, v35
	v_fma_f16 v3, v3, v45, -v49
	v_fmac_f16_e32 v60, v4, v23
	v_fma_f16 v4, v37, v4, -v50
	;; [unrolled: 2-line block ×5, first 2 shown]
	v_add_f16_e32 v22, v0, v18
	v_sub_f16_e32 v0, v0, v18
	v_add_f16_e32 v19, v19, v58
	v_add_f16_e32 v1, v1, v2
	v_add_f16_e32 v21, v56, v65
	v_sub_f16_e32 v23, v56, v65
	v_add_f16_e32 v36, v2, v7
	v_sub_f16_e32 v38, v2, v7
	v_add_f16_e32 v40, v3, v6
	v_sub_f16_e32 v42, v3, v6
	v_sub_f16_e32 v43, v4, v5
	v_add_f16_e32 v45, v4, v5
	v_mul_f16_e32 v20, 0xb853, v0
	v_mul_f16_e32 v47, 0x3abb, v22
	;; [unrolled: 1-line block ×10, first 2 shown]
	v_add_f16_e32 v19, v19, v59
	v_add_f16_e32 v1, v1, v3
	;; [unrolled: 1-line block ×3, first 2 shown]
	v_sub_f16_e32 v33, v57, v64
	v_add_f16_e32 v35, v58, v63
	v_sub_f16_e32 v37, v58, v63
	v_add_f16_e32 v39, v59, v62
	;; [unrolled: 2-line block ×3, first 2 shown]
	v_sub_f16_e32 v46, v60, v61
	v_mul_f16_e32 v54, 0xbb47, v34
	v_mul_f16_e32 v55, 0x36a6, v32
	;; [unrolled: 1-line block ×40, first 2 shown]
	v_fmamk_f16 v2, v21, 0x3abb, v20
	v_fmamk_f16 v58, v23, 0x3853, v47
	v_fma_f16 v20, v21, 0x3abb, -v20
	v_fmac_f16_e32 v47, 0xb853, v23
	v_fmamk_f16 v94, v21, 0x36a6, v48
	v_fmamk_f16 v95, v23, 0x3b47, v49
	v_fma_f16 v48, v21, 0x36a6, -v48
	v_fmac_f16_e32 v49, 0xbb47, v23
	;; [unrolled: 4-line block ×3, first 2 shown]
	v_fmamk_f16 v98, v21, 0xb93d, v52
	v_fmamk_f16 v99, v23, 0x3a0c, v53
	v_fma_f16 v52, v21, 0xb93d, -v52
	v_fmamk_f16 v100, v21, 0xbbad, v0
	v_fmamk_f16 v101, v23, 0x3482, v22
	v_fma_f16 v0, v21, 0xbbad, -v0
	v_fmac_f16_e32 v53, 0xba0c, v23
	v_fmac_f16_e32 v22, 0xb482, v23
	v_add_f16_e32 v19, v19, v60
	v_add_f16_e32 v1, v1, v4
	v_fmamk_f16 v21, v24, 0x36a6, v54
	v_fmamk_f16 v23, v33, 0x3b47, v55
	v_fma_f16 v54, v24, 0x36a6, -v54
	v_fmac_f16_e32 v55, 0xbb47, v33
	v_fmamk_f16 v102, v24, 0xb93d, v56
	v_fmamk_f16 v103, v33, 0x3a0c, v57
	v_fma_f16 v56, v24, 0xb93d, -v56
	v_fmac_f16_e32 v57, 0xba0c, v33
	;; [unrolled: 4-line block ×13, first 2 shown]
	v_fmamk_f16 v122, v39, 0xbbad, v84
	v_fma_f16 v84, v39, 0xbbad, -v84
	v_fmamk_f16 v123, v39, 0x36a6, v42
	v_fma_f16 v39, v39, 0x36a6, -v42
	v_fmamk_f16 v42, v41, 0x3482, v85
	v_fmac_f16_e32 v85, 0xb482, v41
	v_fmamk_f16 v124, v41, 0xbb47, v40
	v_fmac_f16_e32 v40, 0x3b47, v41
	v_fmamk_f16 v41, v44, 0xbbad, v86
	v_fma_f16 v86, v44, 0xbbad, -v86
	v_fmamk_f16 v125, v44, 0x3abb, v87
	v_fma_f16 v87, v44, 0x3abb, -v87
	;; [unrolled: 2-line block ×4, first 2 shown]
	v_fma_f16 v128, 0xb08e, v44, v43
	v_fma_f16 v43, v44, 0xb08e, -v43
	v_fmamk_f16 v44, v46, 0x3482, v90
	v_fmac_f16_e32 v90, 0xb482, v46
	v_fma_f16 v129, 0xb853, v46, v91
	v_fmac_f16_e32 v91, 0x3853, v46
	v_fma_f16 v130, 0x3a0c, v46, v92
	;; [unrolled: 2-line block ×4, first 2 shown]
	v_fmac_f16_e32 v45, 0xbbeb, v46
	v_add_f16_e32 v2, v2, v15
	v_add_f16_e32 v3, v20, v15
	;; [unrolled: 1-line block ×93, first 2 shown]
	v_add_f16_e64 v5, v129, v15
	v_add_f16_e32 v6, v87, v20
	v_add_f16_e32 v7, v91, v22
	;; [unrolled: 1-line block ×3, first 2 shown]
	v_add_f16_e64 v20, v130, v24
	v_add_f16_e32 v22, v88, v32
	v_add_f16_e32 v23, v92, v33
	;; [unrolled: 1-line block ×3, first 2 shown]
	v_add_f16_e64 v32, v131, v35
	v_add_f16_e32 v33, v89, v36
	v_add_f16_e64 v35, v128, v38
	v_add_f16_e64 v36, v132, v42
	v_add_f16_e32 v34, v93, v37
	v_add_f16_e32 v0, v43, v0
	;; [unrolled: 1-line block ×5, first 2 shown]
	v_pack_b32_f16 v2, v2, v4
	v_pack_b32_f16 v3, v3, v5
	;; [unrolled: 1-line block ×11, first 2 shown]
	ds_store_2addr_b32 v9, v3, v4 offset0:26 offset1:39
	ds_store_2addr_b32 v9, v5, v15 offset0:52 offset1:65
	;; [unrolled: 1-line block ×4, first 2 shown]
	ds_store_b32 v9, v7 offset:520
	ds_store_2addr_b32 v9, v1, v2 offset1:13
	global_wb scope:SCOPE_SE
	s_wait_dscnt 0x0
	s_barrier_signal -1
	s_barrier_wait -1
	global_inv scope:SCOPE_SE
	ds_load_2addr_b32 v[19:20], v28 offset0:143 offset1:169
	ds_load_2addr_b32 v[4:5], v28 offset0:26 offset1:52
	;; [unrolled: 1-line block ×4, first 2 shown]
	ds_load_b32 v15, v25
	ds_load_b32 v22, v28 offset:988
	s_and_saveexec_b32 s1, s0
	s_cbranch_execz .LBB0_15
; %bb.14:
	v_add_nc_u32_e32 v0, 0x200, v28
	v_add_nc_u32_e32 v14, 0x82, v8
	ds_load_2addr_b32 v[12:13], v0 offset0:2 offset1:145
	s_wait_dscnt 0x0
	v_lshrrev_b32_e32 v21, 16, v12
	v_lshrrev_b32_e32 v31, 16, v13
.LBB0_15:
	s_wait_alu 0xfffe
	s_or_b32 exec_lo, exec_lo, s1
	v_mov_b32_e32 v9, v16
	v_lshl_add_u32 v29, v29, 2, v30
	s_delay_alu instid0(VALU_DEP_2) | instskip(NEXT) | instid1(VALU_DEP_1)
	v_lshlrev_b64_e32 v[0:1], 2, v[8:9]
	v_add_co_u32 v2, s1, s4, v0
	s_wait_alu 0xf1ff
	s_delay_alu instid0(VALU_DEP_2)
	v_add_co_ci_u32_e64 v3, s1, s5, v1, s1
	s_clause 0x4
	global_load_b32 v9, v[2:3], off offset:520
	global_load_b32 v16, v[2:3], off offset:624
	global_load_b32 v23, v[2:3], off offset:728
	global_load_b32 v24, v[2:3], off offset:832
	global_load_b32 v32, v[2:3], off offset:936
	global_wb scope:SCOPE_SE
	s_wait_loadcnt_dscnt 0x0
	s_barrier_signal -1
	s_barrier_wait -1
	global_inv scope:SCOPE_SE
	v_pk_mul_f16 v30, v9, v19 op_sel:[0,1]
	v_pk_mul_f16 v33, v16, v20 op_sel:[0,1]
	;; [unrolled: 1-line block ×5, first 2 shown]
	v_pk_fma_f16 v37, v9, v19, v30 op_sel:[0,0,1] op_sel_hi:[1,1,0]
	v_pk_fma_f16 v9, v9, v19, v30 op_sel:[0,0,1] op_sel_hi:[1,0,0] neg_lo:[1,0,0] neg_hi:[1,0,0]
	v_pk_fma_f16 v19, v16, v20, v33 op_sel:[0,0,1] op_sel_hi:[1,1,0]
	v_pk_fma_f16 v16, v16, v20, v33 op_sel:[0,0,1] op_sel_hi:[1,0,0] neg_lo:[1,0,0] neg_hi:[1,0,0]
	;; [unrolled: 2-line block ×5, first 2 shown]
	v_bfi_b32 v9, 0xffff, v37, v9
	v_bfi_b32 v16, 0xffff, v19, v16
	;; [unrolled: 1-line block ×5, first 2 shown]
	v_pk_add_f16 v9, v15, v9 neg_lo:[0,1] neg_hi:[0,1]
	v_pk_add_f16 v16, v4, v16 neg_lo:[0,1] neg_hi:[0,1]
	;; [unrolled: 1-line block ×5, first 2 shown]
	v_pk_fma_f16 v15, v15, 2.0, v9 op_sel_hi:[1,0,1] neg_lo:[0,0,1] neg_hi:[0,0,1]
	v_pk_fma_f16 v4, v4, 2.0, v16 op_sel_hi:[1,0,1] neg_lo:[0,0,1] neg_hi:[0,0,1]
	;; [unrolled: 1-line block ×5, first 2 shown]
	ds_store_2addr_b32 v29, v16, v17 offset0:169 offset1:195
	ds_store_2addr_b32 v28, v15, v4 offset1:26
	ds_store_2addr_b32 v28, v5, v6 offset0:52 offset1:78
	ds_store_2addr_b32 v28, v7, v9 offset0:104 offset1:143
	;; [unrolled: 1-line block ×3, first 2 shown]
	s_and_saveexec_b32 s2, s0
	s_cbranch_execz .LBB0_17
; %bb.16:
	v_mov_b32_e32 v15, 0
	s_delay_alu instid0(VALU_DEP_1) | instskip(NEXT) | instid1(VALU_DEP_1)
	v_lshlrev_b64_e32 v[4:5], 2, v[14:15]
	v_add_co_u32 v4, s1, s4, v4
	s_wait_alu 0xf1ff
	s_delay_alu instid0(VALU_DEP_2) | instskip(SKIP_3) | instid1(VALU_DEP_1)
	v_add_co_ci_u32_e64 v5, s1, s5, v5, s1
	global_load_b32 v4, v[4:5], off offset:520
	s_wait_loadcnt 0x0
	v_lshrrev_b32_e32 v5, 16, v4
	v_mul_f16_e32 v6, v31, v5
	v_mul_f16_e32 v5, v13, v5
	s_delay_alu instid0(VALU_DEP_2) | instskip(NEXT) | instid1(VALU_DEP_2)
	v_fmac_f16_e32 v6, v13, v4
	v_fma_f16 v4, v31, v4, -v5
	s_delay_alu instid0(VALU_DEP_2) | instskip(NEXT) | instid1(VALU_DEP_2)
	v_sub_f16_e32 v5, v12, v6
	v_sub_f16_e32 v4, v21, v4
	s_delay_alu instid0(VALU_DEP_2) | instskip(NEXT) | instid1(VALU_DEP_2)
	v_fma_f16 v6, v12, 2.0, -v5
	v_fma_f16 v7, v21, 2.0, -v4
	v_pack_b32_f16 v4, v5, v4
	s_delay_alu instid0(VALU_DEP_2)
	v_pack_b32_f16 v5, v6, v7
	v_add_nc_u32_e32 v6, 0x200, v28
	ds_store_2addr_b32 v6, v5, v4 offset0:2 offset1:145
.LBB0_17:
	s_wait_alu 0xfffe
	s_or_b32 exec_lo, exec_lo, s2
	global_wb scope:SCOPE_SE
	s_wait_dscnt 0x0
	s_barrier_signal -1
	s_barrier_wait -1
	global_inv scope:SCOPE_SE
	ds_load_b32 v7, v25
	v_sub_nc_u32_e32 v4, v27, v26
	v_cmp_ne_u32_e64 s1, 0, v8
                                        ; implicit-def: $vgpr6
                                        ; implicit-def: $vgpr5
	s_wait_dscnt 0x0
	v_lshrrev_b32_e32 v9, 16, v7
	s_delay_alu instid0(VALU_DEP_2)
	s_and_saveexec_b32 s2, s1
	s_wait_alu 0xfffe
	s_xor_b32 s1, exec_lo, s2
	s_cbranch_execz .LBB0_19
; %bb.18:
	global_load_b32 v2, v[2:3], off offset:1092
	ds_load_b32 v3, v4 offset:1144
                                        ; implicit-def: $vgpr27
	s_wait_dscnt 0x0
	v_lshrrev_b32_e32 v5, 16, v3
	v_sub_f16_e32 v6, v7, v3
	v_add_f16_e32 v3, v3, v7
	s_delay_alu instid0(VALU_DEP_3) | instskip(SKIP_1) | instid1(VALU_DEP_4)
	v_add_f16_e32 v12, v5, v9
	v_sub_f16_e32 v5, v9, v5
	v_mul_f16_e32 v6, 0.5, v6
	s_delay_alu instid0(VALU_DEP_3) | instskip(NEXT) | instid1(VALU_DEP_3)
	v_mul_f16_e32 v12, 0.5, v12
	v_mul_f16_e32 v5, 0.5, v5
	s_wait_loadcnt 0x0
	v_lshrrev_b32_e32 v9, 16, v2
	s_delay_alu instid0(VALU_DEP_1) | instskip(NEXT) | instid1(VALU_DEP_3)
	v_mul_f16_e32 v7, v9, v6
	v_fma_f16 v13, v12, v9, v5
	v_fma_f16 v9, v12, v9, -v5
	s_delay_alu instid0(VALU_DEP_3) | instskip(SKIP_1) | instid1(VALU_DEP_4)
	v_fma_f16 v5, 0.5, v3, v7
	v_fma_f16 v3, v3, 0.5, -v7
	v_fma_f16 v7, -v2, v6, v13
	s_delay_alu instid0(VALU_DEP_4)
	v_fma_f16 v9, -v2, v6, v9
	ds_store_b16 v25, v7 offset:2
	ds_store_b16 v4, v9 offset:1146
	v_fmac_f16_e32 v5, v2, v12
	v_fma_f16 v6, -v2, v12, v3
                                        ; implicit-def: $vgpr9
                                        ; implicit-def: $vgpr7
.LBB0_19:
	s_wait_alu 0xfffe
	s_and_not1_saveexec_b32 s1, s1
	s_cbranch_execz .LBB0_21
; %bb.20:
	v_mov_b32_e32 v2, 0
	v_add_f16_e32 v5, v9, v7
	v_sub_f16_e32 v6, v7, v9
	ds_store_b16 v25, v2 offset:2
	ds_store_b16 v4, v2 offset:1146
	ds_load_u16 v2, v27 offset:574
	s_wait_dscnt 0x0
	v_xor_b32_e32 v2, 0x8000, v2
	ds_store_b16 v27, v2 offset:574
.LBB0_21:
	s_wait_alu 0xfffe
	s_or_b32 exec_lo, exec_lo, s1
	s_add_nc_u64 s[2:3], s[4:5], 0x444
	s_wait_alu 0xfffe
	v_add_co_u32 v2, s1, s2, v0
	s_wait_alu 0xf1ff
	v_add_co_ci_u32_e64 v3, s1, s3, v1, s1
	s_clause 0x3
	global_load_b32 v7, v[2:3], off offset:104
	global_load_b32 v9, v[2:3], off offset:208
	global_load_b32 v12, v[2:3], off offset:312
	global_load_b32 v13, v[2:3], off offset:416
	ds_store_b16 v25, v5
	ds_store_b16 v4, v6 offset:1144
	ds_load_b32 v5, v25 offset:104
	ds_load_b32 v6, v4 offset:1040
	s_wait_dscnt 0x0
	v_pk_add_f16 v14, v5, v6 neg_lo:[0,1] neg_hi:[0,1]
	v_pk_add_f16 v5, v5, v6
	s_delay_alu instid0(VALU_DEP_1) | instskip(SKIP_1) | instid1(VALU_DEP_2)
	v_bfi_b32 v6, 0xffff, v14, v5
	v_bfi_b32 v5, 0xffff, v5, v14
	v_pk_mul_f16 v6, v6, 0.5 op_sel_hi:[1,0]
	s_delay_alu instid0(VALU_DEP_2) | instskip(SKIP_1) | instid1(VALU_DEP_1)
	v_pk_mul_f16 v5, v5, 0.5 op_sel_hi:[1,0]
	s_wait_loadcnt 0x3
	v_pk_fma_f16 v14, v7, v6, v5 op_sel:[1,0,0]
	v_pk_mul_f16 v15, v7, v6 op_sel_hi:[0,1]
	v_pk_fma_f16 v16, v7, v6, v5 op_sel:[1,0,0] neg_lo:[1,0,0] neg_hi:[1,0,0]
	v_pk_fma_f16 v5, v7, v6, v5 op_sel:[1,0,0] neg_lo:[0,0,1] neg_hi:[0,0,1]
	s_delay_alu instid0(VALU_DEP_3) | instskip(SKIP_1) | instid1(VALU_DEP_4)
	v_pk_add_f16 v6, v14, v15 op_sel:[0,1] op_sel_hi:[1,0]
	v_pk_add_f16 v7, v14, v15 op_sel:[0,1] op_sel_hi:[1,0] neg_lo:[0,1] neg_hi:[0,1]
	v_pk_add_f16 v14, v16, v15 op_sel:[0,1] op_sel_hi:[1,0] neg_lo:[0,1] neg_hi:[0,1]
	s_delay_alu instid0(VALU_DEP_4) | instskip(NEXT) | instid1(VALU_DEP_3)
	v_pk_add_f16 v5, v5, v15 op_sel:[0,1] op_sel_hi:[1,0] neg_lo:[0,1] neg_hi:[0,1]
	v_bfi_b32 v6, 0xffff, v6, v7
	s_delay_alu instid0(VALU_DEP_2)
	v_bfi_b32 v5, 0xffff, v14, v5
	ds_store_b32 v25, v6 offset:104
	ds_store_b32 v4, v5 offset:1040
	ds_load_b32 v5, v25 offset:208
	ds_load_b32 v6, v4 offset:936
	s_wait_dscnt 0x0
	v_pk_add_f16 v7, v5, v6 neg_lo:[0,1] neg_hi:[0,1]
	v_pk_add_f16 v5, v5, v6
	s_delay_alu instid0(VALU_DEP_1) | instskip(SKIP_1) | instid1(VALU_DEP_2)
	v_bfi_b32 v6, 0xffff, v7, v5
	v_bfi_b32 v5, 0xffff, v5, v7
	v_pk_mul_f16 v6, v6, 0.5 op_sel_hi:[1,0]
	s_delay_alu instid0(VALU_DEP_2) | instskip(SKIP_1) | instid1(VALU_DEP_2)
	v_pk_mul_f16 v5, v5, 0.5 op_sel_hi:[1,0]
	s_wait_loadcnt 0x2
	v_pk_mul_f16 v14, v9, v6 op_sel_hi:[0,1]
	s_delay_alu instid0(VALU_DEP_2) | instskip(SKIP_2) | instid1(VALU_DEP_3)
	v_pk_fma_f16 v7, v9, v6, v5 op_sel:[1,0,0]
	v_pk_fma_f16 v15, v9, v6, v5 op_sel:[1,0,0] neg_lo:[1,0,0] neg_hi:[1,0,0]
	v_pk_fma_f16 v5, v9, v6, v5 op_sel:[1,0,0] neg_lo:[0,0,1] neg_hi:[0,0,1]
	v_pk_add_f16 v6, v7, v14 op_sel:[0,1] op_sel_hi:[1,0]
	v_pk_add_f16 v7, v7, v14 op_sel:[0,1] op_sel_hi:[1,0] neg_lo:[0,1] neg_hi:[0,1]
	s_delay_alu instid0(VALU_DEP_4) | instskip(NEXT) | instid1(VALU_DEP_4)
	v_pk_add_f16 v9, v15, v14 op_sel:[0,1] op_sel_hi:[1,0] neg_lo:[0,1] neg_hi:[0,1]
	v_pk_add_f16 v5, v5, v14 op_sel:[0,1] op_sel_hi:[1,0] neg_lo:[0,1] neg_hi:[0,1]
	s_delay_alu instid0(VALU_DEP_3) | instskip(NEXT) | instid1(VALU_DEP_2)
	v_bfi_b32 v6, 0xffff, v6, v7
	v_bfi_b32 v5, 0xffff, v9, v5
	ds_store_b32 v25, v6 offset:208
	ds_store_b32 v4, v5 offset:936
	ds_load_b32 v5, v25 offset:312
	ds_load_b32 v6, v4 offset:832
	s_wait_dscnt 0x0
	v_pk_add_f16 v7, v5, v6 neg_lo:[0,1] neg_hi:[0,1]
	v_pk_add_f16 v5, v5, v6
	s_delay_alu instid0(VALU_DEP_1) | instskip(SKIP_1) | instid1(VALU_DEP_2)
	v_bfi_b32 v6, 0xffff, v7, v5
	v_bfi_b32 v5, 0xffff, v5, v7
	v_pk_mul_f16 v6, v6, 0.5 op_sel_hi:[1,0]
	s_delay_alu instid0(VALU_DEP_2) | instskip(SKIP_1) | instid1(VALU_DEP_2)
	v_pk_mul_f16 v5, v5, 0.5 op_sel_hi:[1,0]
	s_wait_loadcnt 0x1
	v_pk_mul_f16 v9, v12, v6 op_sel_hi:[0,1]
	s_delay_alu instid0(VALU_DEP_2) | instskip(SKIP_2) | instid1(VALU_DEP_3)
	v_pk_fma_f16 v7, v12, v6, v5 op_sel:[1,0,0]
	v_pk_fma_f16 v14, v12, v6, v5 op_sel:[1,0,0] neg_lo:[1,0,0] neg_hi:[1,0,0]
	v_pk_fma_f16 v5, v12, v6, v5 op_sel:[1,0,0] neg_lo:[0,0,1] neg_hi:[0,0,1]
	v_pk_add_f16 v6, v7, v9 op_sel:[0,1] op_sel_hi:[1,0]
	v_pk_add_f16 v7, v7, v9 op_sel:[0,1] op_sel_hi:[1,0] neg_lo:[0,1] neg_hi:[0,1]
	s_delay_alu instid0(VALU_DEP_4) | instskip(NEXT) | instid1(VALU_DEP_4)
	v_pk_add_f16 v12, v14, v9 op_sel:[0,1] op_sel_hi:[1,0] neg_lo:[0,1] neg_hi:[0,1]
	v_pk_add_f16 v5, v5, v9 op_sel:[0,1] op_sel_hi:[1,0] neg_lo:[0,1] neg_hi:[0,1]
	s_delay_alu instid0(VALU_DEP_3) | instskip(NEXT) | instid1(VALU_DEP_2)
	v_bfi_b32 v6, 0xffff, v6, v7
	;; [unrolled: 27-line block ×3, first 2 shown]
	v_bfi_b32 v5, 0xffff, v12, v5
	ds_store_b32 v25, v6 offset:416
	ds_store_b32 v4, v5 offset:728
	s_and_saveexec_b32 s1, s0
	s_cbranch_execz .LBB0_23
; %bb.22:
	global_load_b32 v2, v[2:3], off offset:520
	ds_load_b32 v3, v25 offset:520
	ds_load_b32 v5, v4 offset:624
	s_wait_dscnt 0x0
	v_pk_add_f16 v6, v3, v5 neg_lo:[0,1] neg_hi:[0,1]
	v_pk_add_f16 v3, v3, v5
	s_delay_alu instid0(VALU_DEP_1) | instskip(SKIP_1) | instid1(VALU_DEP_2)
	v_bfi_b32 v5, 0xffff, v6, v3
	v_bfi_b32 v3, 0xffff, v3, v6
	v_pk_mul_f16 v5, v5, 0.5 op_sel_hi:[1,0]
	s_delay_alu instid0(VALU_DEP_2) | instskip(SKIP_1) | instid1(VALU_DEP_1)
	v_pk_mul_f16 v3, v3, 0.5 op_sel_hi:[1,0]
	s_wait_loadcnt 0x0
	v_pk_fma_f16 v6, v2, v5, v3 op_sel:[1,0,0]
	v_pk_mul_f16 v7, v2, v5 op_sel_hi:[0,1]
	v_pk_fma_f16 v9, v2, v5, v3 op_sel:[1,0,0] neg_lo:[1,0,0] neg_hi:[1,0,0]
	v_pk_fma_f16 v2, v2, v5, v3 op_sel:[1,0,0] neg_lo:[0,0,1] neg_hi:[0,0,1]
	s_delay_alu instid0(VALU_DEP_3) | instskip(SKIP_1) | instid1(VALU_DEP_4)
	v_pk_add_f16 v3, v6, v7 op_sel:[0,1] op_sel_hi:[1,0]
	v_pk_add_f16 v5, v6, v7 op_sel:[0,1] op_sel_hi:[1,0] neg_lo:[0,1] neg_hi:[0,1]
	v_pk_add_f16 v6, v9, v7 op_sel:[0,1] op_sel_hi:[1,0] neg_lo:[0,1] neg_hi:[0,1]
	s_delay_alu instid0(VALU_DEP_4) | instskip(NEXT) | instid1(VALU_DEP_3)
	v_pk_add_f16 v2, v2, v7 op_sel:[0,1] op_sel_hi:[1,0] neg_lo:[0,1] neg_hi:[0,1]
	v_bfi_b32 v3, 0xffff, v3, v5
	s_delay_alu instid0(VALU_DEP_2)
	v_bfi_b32 v2, 0xffff, v6, v2
	ds_store_b32 v25, v3 offset:520
	ds_store_b32 v4, v2 offset:624
.LBB0_23:
	s_wait_alu 0xfffe
	s_or_b32 exec_lo, exec_lo, s1
	global_wb scope:SCOPE_SE
	s_wait_dscnt 0x0
	s_barrier_signal -1
	s_barrier_wait -1
	global_inv scope:SCOPE_SE
	s_and_saveexec_b32 s0, vcc_lo
	s_cbranch_execz .LBB0_26
; %bb.24:
	ds_load_2addr_b32 v[4:5], v25 offset1:26
	ds_load_2addr_b32 v[6:7], v25 offset0:52 offset1:78
	ds_load_2addr_b32 v[12:13], v25 offset0:104 offset1:130
	ds_load_2addr_b32 v[14:15], v25 offset0:156 offset1:182
	ds_load_2addr_b32 v[16:17], v25 offset0:208 offset1:234
	ds_load_b32 v9, v25 offset:1040
	v_add_co_u32 v2, vcc_lo, s8, v10
	s_wait_alu 0xfffd
	v_add_co_ci_u32_e32 v3, vcc_lo, s9, v11, vcc_lo
	s_delay_alu instid0(VALU_DEP_2) | instskip(SKIP_1) | instid1(VALU_DEP_2)
	v_add_co_u32 v0, vcc_lo, v2, v0
	s_wait_alu 0xfffd
	v_add_co_ci_u32_e32 v1, vcc_lo, v3, v1, vcc_lo
	v_cmp_eq_u32_e32 vcc_lo, 25, v8
	s_wait_dscnt 0x5
	s_clause 0x1
	global_store_b32 v[0:1], v4, off
	global_store_b32 v[0:1], v5, off offset:104
	s_wait_dscnt 0x4
	s_clause 0x1
	global_store_b32 v[0:1], v6, off offset:208
	global_store_b32 v[0:1], v7, off offset:312
	s_wait_dscnt 0x3
	s_clause 0x1
	global_store_b32 v[0:1], v12, off offset:416
	;; [unrolled: 4-line block ×4, first 2 shown]
	global_store_b32 v[0:1], v17, off offset:936
	s_wait_dscnt 0x0
	global_store_b32 v[0:1], v9, off offset:1040
	s_and_b32 exec_lo, exec_lo, vcc_lo
	s_cbranch_execz .LBB0_26
; %bb.25:
	ds_load_b32 v0, v25 offset:1044
	s_wait_dscnt 0x0
	global_store_b32 v[2:3], v0, off offset:1144
.LBB0_26:
	s_nop 0
	s_sendmsg sendmsg(MSG_DEALLOC_VGPRS)
	s_endpgm
	.section	.rodata,"a",@progbits
	.p2align	6, 0x0
	.amdhsa_kernel fft_rtc_back_len286_factors_13_11_2_wgs_52_tpt_26_half_ip_CI_unitstride_sbrr_R2C_dirReg
		.amdhsa_group_segment_fixed_size 0
		.amdhsa_private_segment_fixed_size 0
		.amdhsa_kernarg_size 88
		.amdhsa_user_sgpr_count 2
		.amdhsa_user_sgpr_dispatch_ptr 0
		.amdhsa_user_sgpr_queue_ptr 0
		.amdhsa_user_sgpr_kernarg_segment_ptr 1
		.amdhsa_user_sgpr_dispatch_id 0
		.amdhsa_user_sgpr_private_segment_size 0
		.amdhsa_wavefront_size32 1
		.amdhsa_uses_dynamic_stack 0
		.amdhsa_enable_private_segment 0
		.amdhsa_system_sgpr_workgroup_id_x 1
		.amdhsa_system_sgpr_workgroup_id_y 0
		.amdhsa_system_sgpr_workgroup_id_z 0
		.amdhsa_system_sgpr_workgroup_info 0
		.amdhsa_system_vgpr_workitem_id 0
		.amdhsa_next_free_vgpr 133
		.amdhsa_next_free_sgpr 32
		.amdhsa_reserve_vcc 1
		.amdhsa_float_round_mode_32 0
		.amdhsa_float_round_mode_16_64 0
		.amdhsa_float_denorm_mode_32 3
		.amdhsa_float_denorm_mode_16_64 3
		.amdhsa_fp16_overflow 0
		.amdhsa_workgroup_processor_mode 1
		.amdhsa_memory_ordered 1
		.amdhsa_forward_progress 0
		.amdhsa_round_robin_scheduling 0
		.amdhsa_exception_fp_ieee_invalid_op 0
		.amdhsa_exception_fp_denorm_src 0
		.amdhsa_exception_fp_ieee_div_zero 0
		.amdhsa_exception_fp_ieee_overflow 0
		.amdhsa_exception_fp_ieee_underflow 0
		.amdhsa_exception_fp_ieee_inexact 0
		.amdhsa_exception_int_div_zero 0
	.end_amdhsa_kernel
	.text
.Lfunc_end0:
	.size	fft_rtc_back_len286_factors_13_11_2_wgs_52_tpt_26_half_ip_CI_unitstride_sbrr_R2C_dirReg, .Lfunc_end0-fft_rtc_back_len286_factors_13_11_2_wgs_52_tpt_26_half_ip_CI_unitstride_sbrr_R2C_dirReg
                                        ; -- End function
	.section	.AMDGPU.csdata,"",@progbits
; Kernel info:
; codeLenInByte = 9904
; NumSgprs: 34
; NumVgprs: 133
; ScratchSize: 0
; MemoryBound: 0
; FloatMode: 240
; IeeeMode: 1
; LDSByteSize: 0 bytes/workgroup (compile time only)
; SGPRBlocks: 4
; VGPRBlocks: 16
; NumSGPRsForWavesPerEU: 34
; NumVGPRsForWavesPerEU: 133
; Occupancy: 10
; WaveLimiterHint : 1
; COMPUTE_PGM_RSRC2:SCRATCH_EN: 0
; COMPUTE_PGM_RSRC2:USER_SGPR: 2
; COMPUTE_PGM_RSRC2:TRAP_HANDLER: 0
; COMPUTE_PGM_RSRC2:TGID_X_EN: 1
; COMPUTE_PGM_RSRC2:TGID_Y_EN: 0
; COMPUTE_PGM_RSRC2:TGID_Z_EN: 0
; COMPUTE_PGM_RSRC2:TIDIG_COMP_CNT: 0
	.text
	.p2alignl 7, 3214868480
	.fill 96, 4, 3214868480
	.type	__hip_cuid_38d75e641b01e67c,@object ; @__hip_cuid_38d75e641b01e67c
	.section	.bss,"aw",@nobits
	.globl	__hip_cuid_38d75e641b01e67c
__hip_cuid_38d75e641b01e67c:
	.byte	0                               ; 0x0
	.size	__hip_cuid_38d75e641b01e67c, 1

	.ident	"AMD clang version 19.0.0git (https://github.com/RadeonOpenCompute/llvm-project roc-6.4.0 25133 c7fe45cf4b819c5991fe208aaa96edf142730f1d)"
	.section	".note.GNU-stack","",@progbits
	.addrsig
	.addrsig_sym __hip_cuid_38d75e641b01e67c
	.amdgpu_metadata
---
amdhsa.kernels:
  - .args:
      - .actual_access:  read_only
        .address_space:  global
        .offset:         0
        .size:           8
        .value_kind:     global_buffer
      - .offset:         8
        .size:           8
        .value_kind:     by_value
      - .actual_access:  read_only
        .address_space:  global
        .offset:         16
        .size:           8
        .value_kind:     global_buffer
      - .actual_access:  read_only
        .address_space:  global
        .offset:         24
        .size:           8
        .value_kind:     global_buffer
      - .offset:         32
        .size:           8
        .value_kind:     by_value
      - .actual_access:  read_only
        .address_space:  global
        .offset:         40
        .size:           8
        .value_kind:     global_buffer
      - .actual_access:  read_only
        .address_space:  global
        .offset:         48
        .size:           8
        .value_kind:     global_buffer
      - .offset:         56
        .size:           4
        .value_kind:     by_value
      - .actual_access:  read_only
        .address_space:  global
        .offset:         64
        .size:           8
        .value_kind:     global_buffer
      - .actual_access:  read_only
        .address_space:  global
        .offset:         72
        .size:           8
        .value_kind:     global_buffer
      - .address_space:  global
        .offset:         80
        .size:           8
        .value_kind:     global_buffer
    .group_segment_fixed_size: 0
    .kernarg_segment_align: 8
    .kernarg_segment_size: 88
    .language:       OpenCL C
    .language_version:
      - 2
      - 0
    .max_flat_workgroup_size: 52
    .name:           fft_rtc_back_len286_factors_13_11_2_wgs_52_tpt_26_half_ip_CI_unitstride_sbrr_R2C_dirReg
    .private_segment_fixed_size: 0
    .sgpr_count:     34
    .sgpr_spill_count: 0
    .symbol:         fft_rtc_back_len286_factors_13_11_2_wgs_52_tpt_26_half_ip_CI_unitstride_sbrr_R2C_dirReg.kd
    .uniform_work_group_size: 1
    .uses_dynamic_stack: false
    .vgpr_count:     133
    .vgpr_spill_count: 0
    .wavefront_size: 32
    .workgroup_processor_mode: 1
amdhsa.target:   amdgcn-amd-amdhsa--gfx1201
amdhsa.version:
  - 1
  - 2
...

	.end_amdgpu_metadata
